;; amdgpu-corpus repo=ROCm/rocFFT kind=compiled arch=gfx906 opt=O3
	.text
	.amdgcn_target "amdgcn-amd-amdhsa--gfx906"
	.amdhsa_code_object_version 6
	.protected	bluestein_single_fwd_len441_dim1_sp_op_CI_CI ; -- Begin function bluestein_single_fwd_len441_dim1_sp_op_CI_CI
	.globl	bluestein_single_fwd_len441_dim1_sp_op_CI_CI
	.p2align	8
	.type	bluestein_single_fwd_len441_dim1_sp_op_CI_CI,@function
bluestein_single_fwd_len441_dim1_sp_op_CI_CI: ; @bluestein_single_fwd_len441_dim1_sp_op_CI_CI
; %bb.0:
	s_load_dwordx4 s[0:3], s[4:5], 0x28
	v_mul_u32_u24_e32 v1, 0x411, v0
	v_add_u32_sdwa v40, s6, v1 dst_sel:DWORD dst_unused:UNUSED_PAD src0_sel:DWORD src1_sel:WORD_1
	v_mov_b32_e32 v41, 0
	s_waitcnt lgkmcnt(0)
	v_cmp_gt_u64_e32 vcc, s[0:1], v[40:41]
	s_and_saveexec_b64 s[0:1], vcc
	s_cbranch_execz .LBB0_15
; %bb.1:
	s_load_dwordx2 s[8:9], s[4:5], 0x0
	s_load_dwordx2 s[6:7], s[4:5], 0x38
	v_mov_b32_e32 v2, 63
	v_mul_lo_u16_sdwa v1, v1, v2 dst_sel:DWORD dst_unused:UNUSED_PAD src0_sel:WORD_1 src1_sel:DWORD
	v_sub_u16_e32 v44, v0, v1
	v_cmp_gt_u16_e32 vcc, 49, v44
	v_lshlrev_b32_e32 v43, 3, v44
	s_and_saveexec_b64 s[10:11], vcc
	s_cbranch_execz .LBB0_3
; %bb.2:
	s_load_dwordx2 s[0:1], s[4:5], 0x18
	s_waitcnt lgkmcnt(0)
	s_load_dwordx4 s[12:15], s[0:1], 0x0
	s_waitcnt lgkmcnt(0)
	v_mad_u64_u32 v[0:1], s[0:1], s14, v40, 0
	v_mad_u64_u32 v[2:3], s[0:1], s12, v44, 0
	;; [unrolled: 1-line block ×4, first 2 shown]
	v_mov_b32_e32 v1, v4
	v_lshlrev_b64 v[0:1], 3, v[0:1]
	v_mov_b32_e32 v3, v5
	v_mov_b32_e32 v6, s3
	v_lshlrev_b64 v[2:3], 3, v[2:3]
	v_add_co_u32_e64 v0, s[0:1], s2, v0
	v_addc_co_u32_e64 v1, s[0:1], v6, v1, s[0:1]
	v_add_co_u32_e64 v0, s[0:1], v0, v2
	v_addc_co_u32_e64 v1, s[0:1], v1, v3, s[0:1]
	s_mul_i32 s0, s13, 0x188
	s_mul_hi_u32 s1, s12, 0x188
	s_add_i32 s2, s1, s0
	s_mul_i32 s3, s12, 0x188
	v_mov_b32_e32 v3, s2
	v_add_co_u32_e64 v2, s[0:1], s3, v0
	v_addc_co_u32_e64 v3, s[0:1], v1, v3, s[0:1]
	v_mov_b32_e32 v5, s2
	v_add_co_u32_e64 v4, s[0:1], s3, v2
	v_addc_co_u32_e64 v5, s[0:1], v3, v5, s[0:1]
	;; [unrolled: 3-line block ×3, first 2 shown]
	global_load_dwordx2 v[8:9], v[0:1], off
	global_load_dwordx2 v[10:11], v[2:3], off
	;; [unrolled: 1-line block ×4, first 2 shown]
	global_load_dwordx2 v[16:17], v43, s[8:9]
	global_load_dwordx2 v[18:19], v43, s[8:9] offset:392
	global_load_dwordx2 v[20:21], v43, s[8:9] offset:784
	;; [unrolled: 1-line block ×3, first 2 shown]
	v_mov_b32_e32 v1, s2
	v_add_co_u32_e64 v0, s[0:1], s3, v6
	v_addc_co_u32_e64 v1, s[0:1], v7, v1, s[0:1]
	global_load_dwordx2 v[2:3], v[0:1], off
	global_load_dwordx2 v[4:5], v43, s[8:9] offset:1568
	v_mov_b32_e32 v6, s2
	v_add_co_u32_e64 v0, s[0:1], s3, v0
	v_addc_co_u32_e64 v1, s[0:1], v1, v6, s[0:1]
	global_load_dwordx2 v[6:7], v[0:1], off
	v_mov_b32_e32 v24, s2
	v_add_co_u32_e64 v0, s[0:1], s3, v0
	v_addc_co_u32_e64 v1, s[0:1], v1, v24, s[0:1]
	global_load_dwordx2 v[24:25], v[0:1], off
	global_load_dwordx2 v[26:27], v43, s[8:9] offset:1960
	global_load_dwordx2 v[28:29], v43, s[8:9] offset:2352
	v_mov_b32_e32 v30, s2
	v_add_co_u32_e64 v0, s[0:1], s3, v0
	v_addc_co_u32_e64 v1, s[0:1], v1, v30, s[0:1]
	global_load_dwordx2 v[30:31], v[0:1], off
	global_load_dwordx2 v[32:33], v43, s[8:9] offset:2744
	v_mov_b32_e32 v34, s2
	v_add_co_u32_e64 v0, s[0:1], s3, v0
	v_addc_co_u32_e64 v1, s[0:1], v1, v34, s[0:1]
	global_load_dwordx2 v[34:35], v43, s[8:9] offset:3136
	global_load_dwordx2 v[36:37], v[0:1], off
	s_waitcnt vmcnt(13)
	v_mul_f32_e32 v0, v9, v17
	v_mul_f32_e32 v1, v8, v17
	v_fmac_f32_e32 v0, v8, v16
	v_fma_f32 v1, v9, v16, -v1
	s_waitcnt vmcnt(12)
	v_mul_f32_e32 v8, v11, v19
	v_mul_f32_e32 v9, v10, v19
	v_fmac_f32_e32 v8, v10, v18
	v_fma_f32 v9, v11, v18, -v9
	s_waitcnt vmcnt(11)
	v_mul_f32_e32 v10, v13, v21
	v_mul_f32_e32 v11, v12, v21
	ds_write2_b64 v43, v[0:1], v[8:9] offset1:49
	s_waitcnt vmcnt(10)
	v_mul_f32_e32 v0, v15, v23
	v_mul_f32_e32 v1, v14, v23
	v_fmac_f32_e32 v10, v12, v20
	v_fma_f32 v11, v13, v20, -v11
	v_fmac_f32_e32 v0, v14, v22
	v_fma_f32 v1, v15, v22, -v1
	s_waitcnt vmcnt(8)
	v_mul_f32_e32 v8, v3, v5
	v_mul_f32_e32 v5, v2, v5
	ds_write2_b64 v43, v[10:11], v[0:1] offset0:98 offset1:147
	s_waitcnt vmcnt(5)
	v_mul_f32_e32 v0, v7, v27
	v_mul_f32_e32 v1, v6, v27
	v_fmac_f32_e32 v8, v2, v4
	v_fma_f32 v9, v3, v4, -v5
	v_fmac_f32_e32 v0, v6, v26
	v_fma_f32 v1, v7, v26, -v1
	ds_write2_b64 v43, v[8:9], v[0:1] offset0:196 offset1:245
	s_waitcnt vmcnt(4)
	v_mul_f32_e32 v0, v25, v29
	v_mul_f32_e32 v1, v24, v29
	s_waitcnt vmcnt(2)
	v_mul_f32_e32 v2, v31, v33
	v_mul_f32_e32 v3, v30, v33
	v_fmac_f32_e32 v0, v24, v28
	v_fma_f32 v1, v25, v28, -v1
	v_fmac_f32_e32 v2, v30, v32
	v_fma_f32 v3, v31, v32, -v3
	v_add_u32_e32 v4, 0x800, v43
	ds_write2_b64 v4, v[0:1], v[2:3] offset0:38 offset1:87
	s_waitcnt vmcnt(0)
	v_mul_f32_e32 v0, v37, v35
	v_mul_f32_e32 v1, v36, v35
	v_fmac_f32_e32 v0, v36, v34
	v_fma_f32 v1, v37, v34, -v1
	ds_write_b64 v43, v[0:1] offset:3136
.LBB0_3:
	s_or_b64 exec, exec, s[10:11]
	s_load_dwordx2 s[0:1], s[4:5], 0x20
	s_load_dwordx2 s[10:11], s[4:5], 0x8
	v_mov_b32_e32 v2, 0
	v_mov_b32_e32 v3, 0
	;; [unrolled: 1-line block ×8, first 2 shown]
	s_waitcnt lgkmcnt(0)
	; wave barrier
	s_waitcnt lgkmcnt(0)
                                        ; implicit-def: $vgpr12
                                        ; implicit-def: $vgpr16
	s_and_saveexec_b64 s[2:3], vcc
	s_cbranch_execz .LBB0_5
; %bb.4:
	ds_read2_b64 v[0:3], v43 offset1:49
	ds_read2_b64 v[8:11], v43 offset0:98 offset1:147
	ds_read2_b64 v[4:7], v43 offset0:196 offset1:245
	v_add_u32_e32 v12, 0x800, v43
	ds_read2_b64 v[12:15], v12 offset0:38 offset1:87
	ds_read_b64 v[16:17], v43 offset:3136
.LBB0_5:
	s_or_b64 exec, exec, s[2:3]
	s_waitcnt lgkmcnt(0)
	v_add_f32_e32 v20, v16, v2
	v_add_f32_e32 v24, v17, v3
	v_sub_f32_e32 v21, v2, v16
	v_sub_f32_e32 v16, v3, v17
	;; [unrolled: 1-line block ×4, first 2 shown]
	v_mov_b32_e32 v2, v0
	v_mov_b32_e32 v3, v1
	v_add_f32_e32 v22, v14, v8
	v_add_f32_e32 v25, v15, v9
	v_mul_f32_e32 v8, 0x3f7c1c5c, v23
	v_mul_f32_e32 v9, 0x3f7c1c5c, v17
	v_fmac_f32_e32 v2, 0x3f441b7d, v20
	v_fmac_f32_e32 v3, 0x3f441b7d, v24
	v_add_f32_e32 v18, v12, v10
	v_add_f32_e32 v19, v13, v11
	v_sub_f32_e32 v26, v10, v12
	v_sub_f32_e32 v27, v11, v13
	v_fmac_f32_e32 v8, 0x3f248dbb, v21
	v_fmac_f32_e32 v9, 0x3f248dbb, v16
	v_fmac_f32_e32 v2, 0x3e31d0d4, v22
	v_fmac_f32_e32 v3, 0x3e31d0d4, v25
	v_fmac_f32_e32 v8, 0x3f5db3d7, v26
	v_fmac_f32_e32 v9, 0x3f5db3d7, v27
	v_sub_f32_e32 v11, v4, v6
	v_sub_f32_e32 v10, v5, v7
	v_fmac_f32_e32 v2, -0.5, v18
	v_fmac_f32_e32 v3, -0.5, v19
	v_add_f32_e32 v12, v6, v4
	v_add_f32_e32 v13, v7, v5
	v_fmac_f32_e32 v8, 0x3eaf1d44, v11
	v_fmac_f32_e32 v9, 0x3eaf1d44, v10
	;; [unrolled: 1-line block ×4, first 2 shown]
	v_add_f32_e32 v2, v2, v9
	v_sub_f32_e32 v3, v3, v8
	s_mov_b32 s2, 0x3f7c1c5c
	v_fma_f32 v41, -2.0, v9, v2
	v_fma_f32 v42, 2.0, v8, v3
	v_mul_f32_e32 v8, 0x3f248dbb, v11
	v_mul_f32_e32 v9, 0x3f248dbb, v10
	v_fma_f32 v15, v21, s2, -v8
	v_fma_f32 v14, v16, s2, -v9
	v_mov_b32_e32 v8, v0
	v_mov_b32_e32 v9, v1
	v_fmac_f32_e32 v8, 0x3f441b7d, v12
	v_fmac_f32_e32 v9, 0x3f441b7d, v13
	;; [unrolled: 1-line block ×6, first 2 shown]
	v_fmac_f32_e32 v8, -0.5, v18
	v_fmac_f32_e32 v9, -0.5, v19
	v_fmac_f32_e32 v15, 0x3eaf1d44, v23
	v_fmac_f32_e32 v14, 0x3eaf1d44, v17
	;; [unrolled: 1-line block ×4, first 2 shown]
	v_add_f32_e32 v8, v14, v8
	v_sub_f32_e32 v9, v9, v15
	v_fma_f32 v14, -2.0, v14, v8
	v_fma_f32 v15, 2.0, v15, v9
	v_mul_lo_u16_e32 v45, 9, v44
	s_waitcnt lgkmcnt(0)
	; wave barrier
	s_and_saveexec_b64 s[2:3], vcc
	s_cbranch_execz .LBB0_7
; %bb.6:
	v_mul_f32_e32 v29, 0x3f7c1c5c, v11
	s_mov_b32 s4, 0xbf248dbb
	v_mul_f32_e32 v26, 0x3f5db3d7, v26
	v_fma_f32 v29, v23, s4, -v29
	v_add_f32_e32 v26, v26, v29
	v_mov_b32_e32 v29, v1
	v_fmac_f32_e32 v29, 0x3f441b7d, v25
	v_mul_f32_e32 v28, 0x3f5db3d7, v27
	v_mul_f32_e32 v27, 0.5, v19
	v_fmac_f32_e32 v29, 0x3e31d0d4, v13
	v_sub_f32_e32 v27, v29, v27
	v_fmac_f32_e32 v26, 0x3eaf1d44, v21
	v_fmac_f32_e32 v27, 0xbf708fb2, v24
	v_sub_f32_e32 v27, v27, v26
	v_fma_f32 v29, 2.0, v26, v27
	v_mul_f32_e32 v26, 0x3f7c1c5c, v10
	v_fma_f32 v26, v17, s4, -v26
	v_add_f32_e32 v28, v28, v26
	v_mov_b32_e32 v26, v0
	v_add_f32_e32 v24, v24, v25
	v_fmac_f32_e32 v26, 0x3f441b7d, v22
	v_add_f32_e32 v25, v24, v19
	v_mul_f32_e32 v30, 0.5, v18
	v_fmac_f32_e32 v26, 0x3e31d0d4, v12
	v_add_f32_e32 v5, v25, v5
	v_sub_f32_e32 v26, v26, v30
	v_add_f32_e32 v5, v7, v5
	v_add_f32_e32 v7, v20, v22
	v_fmac_f32_e32 v26, 0xbf708fb2, v20
	v_add_f32_e32 v20, v7, v18
	v_add_f32_e32 v4, v20, v4
	;; [unrolled: 1-line block ×11, first 2 shown]
	v_sub_f32_e32 v6, v6, v23
	v_fmac_f32_e32 v1, -0.5, v13
	v_sub_f32_e32 v10, v10, v17
	v_fmac_f32_e32 v0, -0.5, v7
	v_fmac_f32_e32 v28, 0x3eaf1d44, v16
	v_mul_f32_e32 v11, 0x3f5db3d7, v6
	v_fmac_f32_e32 v1, 0xbf5db3d7, v6
	v_fmac_f32_e32 v0, 0x3f5db3d7, v10
	v_lshlrev_b32_e32 v7, 3, v45
	v_add_f32_e32 v26, v26, v28
	v_fma_f32 v6, 2.0, v11, v1
	v_mul_f32_e32 v11, 0x3f5db3d7, v10
	ds_write2_b64 v7, v[4:5], v[2:3] offset1:1
	v_mov_b32_e32 v5, v0
	v_fma_f32 v28, -2.0, v28, v26
	v_fmac_f32_e32 v5, -2.0, v11
	ds_write2_b64 v7, v[8:9], v[0:1] offset0:2 offset1:3
	ds_write2_b64 v7, v[26:27], v[28:29] offset0:4 offset1:5
	ds_write2_b64 v7, v[5:6], v[14:15] offset0:6 offset1:7
	ds_write_b64 v7, v[41:42] offset:64
.LBB0_7:
	s_or_b64 exec, exec, s[2:3]
	v_mov_b32_e32 v0, 57
	v_mul_lo_u16_sdwa v0, v44, v0 dst_sel:DWORD dst_unused:UNUSED_PAD src0_sel:BYTE_0 src1_sel:DWORD
	v_lshrrev_b16_e32 v28, 9, v0
	v_mul_lo_u16_e32 v0, 9, v28
	v_sub_u16_e32 v0, v44, v0
	v_and_b32_e32 v29, 0xff, v0
	v_mul_u32_u24_e32 v0, 6, v29
	v_lshlrev_b32_e32 v12, 3, v0
	s_load_dwordx4 s[0:3], s[0:1], 0x0
	s_waitcnt lgkmcnt(0)
	; wave barrier
	s_waitcnt lgkmcnt(0)
	global_load_dwordx4 v[8:11], v12, s[10:11]
	global_load_dwordx4 v[4:7], v12, s[10:11] offset:16
	global_load_dwordx4 v[0:3], v12, s[10:11] offset:32
	v_add_u32_e32 v47, 0x400, v43
	ds_read2_b64 v[16:19], v43 offset1:63
	ds_read2_b64 v[20:23], v43 offset0:126 offset1:189
	ds_read_b64 v[12:13], v43 offset:3024
	ds_read2_b64 v[24:27], v47 offset0:124 offset1:187
	s_mov_b32 s12, 0x3f3bfb3b
	s_mov_b32 s4, 0xbf3bfb3b
	;; [unrolled: 1-line block ×4, first 2 shown]
	v_mul_u32_u24_e32 v28, 63, v28
	s_waitcnt lgkmcnt(0)
	; wave barrier
	s_waitcnt vmcnt(2) lgkmcnt(0)
	v_mul_f32_e32 v30, v19, v9
	v_mul_f32_e32 v31, v18, v9
	;; [unrolled: 1-line block ×4, first 2 shown]
	s_waitcnt vmcnt(1)
	v_mul_f32_e32 v34, v23, v5
	s_waitcnt vmcnt(0)
	v_mul_f32_e32 v38, v27, v1
	v_mul_f32_e32 v39, v26, v1
	;; [unrolled: 1-line block ×7, first 2 shown]
	v_fma_f32 v20, v20, v10, -v32
	v_fmac_f32_e32 v33, v21, v10
	v_fma_f32 v21, v22, v4, -v34
	v_fma_f32 v18, v18, v8, -v30
	v_fmac_f32_e32 v31, v19, v8
	v_fma_f32 v22, v26, v0, -v38
	v_fmac_f32_e32 v39, v27, v0
	;; [unrolled: 2-line block ×3, first 2 shown]
	v_fmac_f32_e32 v35, v23, v4
	v_fma_f32 v19, v24, v6, -v36
	v_fmac_f32_e32 v37, v25, v6
	v_add_f32_e32 v13, v18, v12
	v_add_f32_e32 v23, v31, v48
	;; [unrolled: 1-line block ×4, first 2 shown]
	v_sub_f32_e32 v12, v18, v12
	v_sub_f32_e32 v18, v31, v48
	v_sub_f32_e32 v20, v20, v22
	v_add_f32_e32 v26, v21, v19
	v_add_f32_e32 v27, v35, v37
	v_sub_f32_e32 v19, v19, v21
	v_add_f32_e32 v30, v24, v13
	v_add_f32_e32 v31, v25, v23
	v_sub_f32_e32 v22, v33, v39
	v_sub_f32_e32 v21, v37, v35
	;; [unrolled: 1-line block ×8, first 2 shown]
	v_add_f32_e32 v34, v19, v20
	v_add_f32_e32 v26, v26, v30
	;; [unrolled: 1-line block ×3, first 2 shown]
	v_sub_f32_e32 v36, v19, v20
	v_sub_f32_e32 v37, v21, v22
	;; [unrolled: 1-line block ×4, first 2 shown]
	v_add_f32_e32 v30, v34, v12
	v_mul_f32_e32 v31, 0x3f4a47b2, v13
	v_mul_f32_e32 v34, 0x3d64c772, v24
	v_add_f32_e32 v12, v16, v26
	v_add_f32_e32 v13, v17, v27
	v_add_f32_e32 v35, v21, v22
	v_sub_f32_e32 v21, v18, v21
	v_sub_f32_e32 v22, v22, v18
	v_mul_f32_e32 v23, 0x3f4a47b2, v23
	v_mul_f32_e32 v36, 0xbf08b237, v36
	;; [unrolled: 1-line block ×3, first 2 shown]
	v_fma_f32 v16, v32, s12, -v34
	v_fma_f32 v32, v32, s4, -v31
	v_fmac_f32_e32 v31, 0x3d64c772, v24
	v_mov_b32_e32 v24, v12
	v_mov_b32_e32 v34, v13
	v_add_f32_e32 v18, v35, v18
	v_mul_f32_e32 v35, 0x3d64c772, v25
	v_mul_f32_e32 v38, 0x3f5ff5aa, v20
	;; [unrolled: 1-line block ×3, first 2 shown]
	v_fmac_f32_e32 v24, 0xbf955555, v26
	v_fmac_f32_e32 v34, 0xbf955555, v27
	v_fma_f32 v26, v33, s4, -v23
	v_fmac_f32_e32 v23, 0x3d64c772, v25
	v_fma_f32 v25, v20, s5, -v36
	;; [unrolled: 2-line block ×4, first 2 shown]
	v_fma_f32 v27, v19, s13, -v38
	v_fma_f32 v33, v21, s13, -v39
	v_add_f32_e32 v31, v31, v24
	v_add_f32_e32 v35, v23, v34
	v_fmac_f32_e32 v36, 0x3ee1c552, v30
	v_fmac_f32_e32 v37, 0x3ee1c552, v18
	v_add_f32_e32 v23, v16, v24
	v_add_f32_e32 v38, v17, v34
	;; [unrolled: 1-line block ×4, first 2 shown]
	v_fmac_f32_e32 v25, 0x3ee1c552, v30
	v_fmac_f32_e32 v22, 0x3ee1c552, v18
	;; [unrolled: 1-line block ×4, first 2 shown]
	v_add_f32_e32 v16, v37, v31
	v_sub_f32_e32 v17, v35, v36
	v_add_lshl_u32 v46, v28, v29, 3
	v_add_f32_e32 v18, v33, v24
	v_sub_f32_e32 v19, v26, v27
	v_sub_f32_e32 v20, v23, v22
	v_add_f32_e32 v21, v25, v38
	v_add_f32_e32 v22, v22, v23
	v_sub_f32_e32 v23, v38, v25
	v_sub_f32_e32 v24, v24, v33
	v_add_f32_e32 v25, v27, v26
	ds_write2_b64 v46, v[12:13], v[16:17] offset1:9
	ds_write2_b64 v46, v[18:19], v[20:21] offset0:18 offset1:27
	ds_write2_b64 v46, v[22:23], v[24:25] offset0:36 offset1:45
	v_mad_u64_u32 v[12:13], s[10:11], v44, 48, s[10:11]
	v_sub_f32_e32 v26, v31, v37
	v_add_f32_e32 v27, v36, v35
	ds_write_b64 v46, v[26:27] offset:432
	s_waitcnt lgkmcnt(0)
	; wave barrier
	s_waitcnt lgkmcnt(0)
	global_load_dwordx4 v[24:27], v[12:13], off offset:432
	global_load_dwordx4 v[20:23], v[12:13], off offset:448
	;; [unrolled: 1-line block ×3, first 2 shown]
	ds_read2_b64 v[28:31], v43 offset0:126 offset1:189
	ds_read2_b64 v[32:35], v47 offset0:124 offset1:187
	ds_read_b64 v[12:13], v43 offset:3024
	ds_read2_b64 v[36:39], v43 offset1:63
	s_waitcnt vmcnt(2) lgkmcnt(3)
	v_mul_f32_e32 v48, v29, v27
	v_mul_f32_e32 v49, v28, v27
	s_waitcnt vmcnt(1)
	v_mul_f32_e32 v51, v30, v21
	s_waitcnt lgkmcnt(2)
	v_mul_f32_e32 v52, v33, v23
	s_waitcnt vmcnt(0)
	v_mul_f32_e32 v54, v35, v17
	v_mul_f32_e32 v55, v34, v17
	s_waitcnt lgkmcnt(1)
	v_mul_f32_e32 v56, v13, v19
	v_mul_f32_e32 v57, v12, v19
	s_waitcnt lgkmcnt(0)
	v_mul_f32_e32 v58, v39, v25
	v_mul_f32_e32 v59, v38, v25
	;; [unrolled: 1-line block ×4, first 2 shown]
	v_fma_f32 v48, v28, v26, -v48
	v_fmac_f32_e32 v49, v29, v26
	v_fmac_f32_e32 v51, v31, v20
	v_fma_f32 v31, v32, v22, -v52
	v_fma_f32 v32, v34, v16, -v54
	v_fmac_f32_e32 v55, v35, v16
	v_fma_f32 v12, v12, v18, -v56
	v_fmac_f32_e32 v57, v13, v18
	v_fma_f32 v13, v38, v24, -v58
	v_fmac_f32_e32 v59, v39, v24
	v_fma_f32 v30, v30, v20, -v50
	v_fmac_f32_e32 v53, v33, v22
	v_add_f32_e32 v34, v13, v12
	v_add_f32_e32 v33, v48, v32
	;; [unrolled: 1-line block ×12, first 2 shown]
	v_sub_f32_e32 v12, v13, v12
	v_sub_f32_e32 v13, v59, v57
	;; [unrolled: 1-line block ×6, first 2 shown]
	v_mov_b32_e32 v48, v28
	v_mov_b32_e32 v49, v29
	v_fmac_f32_e32 v48, 0xbf955555, v39
	v_fmac_f32_e32 v49, 0xbf955555, v54
	v_sub_f32_e32 v37, v33, v34
	v_sub_f32_e32 v51, v35, v33
	;; [unrolled: 1-line block ×4, first 2 shown]
	v_add_f32_e32 v33, v30, v32
	v_sub_f32_e32 v38, v30, v32
	v_sub_f32_e32 v55, v32, v12
	v_add_f32_e32 v32, v31, v36
	v_sub_f32_e32 v39, v31, v36
	v_sub_f32_e32 v36, v36, v13
	;; [unrolled: 1-line block ×3, first 2 shown]
	v_add_f32_e32 v57, v32, v13
	v_sub_f32_e32 v13, v13, v31
	v_mul_f32_e32 v31, 0x3f4a47b2, v34
	v_mul_f32_e32 v34, 0x3f5ff5aa, v36
	v_fma_f32 v35, v37, s4, -v31
	v_fma_f32 v34, v13, s13, -v34
	v_mul_f32_e32 v59, 0xbf08b237, v39
	v_add_f32_e32 v35, v35, v48
	v_fmac_f32_e32 v34, 0x3ee1c552, v57
	v_fma_f32 v61, v36, s5, -v59
	v_add_f32_e32 v36, v34, v35
	v_sub_f32_e32 v34, v35, v34
	v_sub_f32_e32 v35, v50, v52
	v_add_f32_e32 v56, v33, v12
	v_sub_f32_e32 v50, v12, v30
	v_mul_f32_e32 v52, 0x3f4a47b2, v35
	v_mul_f32_e32 v12, 0x3f5ff5aa, v55
	;; [unrolled: 1-line block ×5, first 2 shown]
	v_fma_f32 v30, v53, s4, -v52
	v_fma_f32 v12, v50, s13, -v12
	;; [unrolled: 1-line block ×5, first 2 shown]
	v_add_f32_e32 v30, v30, v49
	v_fmac_f32_e32 v12, 0x3ee1c552, v56
	v_fmac_f32_e32 v31, 0x3d64c772, v51
	;; [unrolled: 1-line block ×5, first 2 shown]
	v_add_f32_e32 v32, v32, v48
	v_add_f32_e32 v33, v33, v49
	v_fmac_f32_e32 v60, 0x3ee1c552, v56
	v_fmac_f32_e32 v61, 0x3ee1c552, v57
	v_sub_f32_e32 v37, v30, v12
	v_add_f32_e32 v35, v12, v30
	v_add_f32_e32 v12, v31, v48
	v_fmac_f32_e32 v59, 0x3ee1c552, v57
	v_add_f32_e32 v13, v52, v49
	v_fmac_f32_e32 v58, 0x3ee1c552, v56
	v_sub_f32_e32 v38, v32, v61
	v_add_f32_e32 v39, v60, v33
	v_add_f32_e32 v32, v61, v32
	v_sub_f32_e32 v33, v33, v60
	v_add_f32_e32 v30, v59, v12
	v_sub_f32_e32 v12, v12, v59
	v_sub_f32_e32 v31, v13, v58
	v_add_f32_e32 v13, v58, v13
	ds_write2_b64 v43, v[28:29], v[30:31] offset1:63
	ds_write2_b64 v43, v[36:37], v[38:39] offset0:126 offset1:189
	ds_write2_b64 v47, v[32:33], v[34:35] offset0:124 offset1:187
	ds_write_b64 v43, v[12:13] offset:3024
	s_waitcnt lgkmcnt(0)
	; wave barrier
	s_waitcnt lgkmcnt(0)
	s_and_saveexec_b64 s[4:5], vcc
	s_cbranch_execz .LBB0_9
; %bb.8:
	global_load_dwordx2 v[51:52], v43, s[8:9] offset:3528
	ds_read2_b64 v[47:50], v43 offset1:49
	s_add_u32 s10, s8, 0xdc8
	s_addc_u32 s11, s9, 0
	v_add_u32_e32 v55, 0x800, v43
	s_waitcnt vmcnt(0) lgkmcnt(0)
	v_mul_f32_e32 v53, v48, v52
	v_mul_f32_e32 v54, v47, v52
	v_fma_f32 v53, v47, v51, -v53
	v_fmac_f32_e32 v54, v48, v51
	global_load_dwordx2 v[47:48], v43, s[10:11] offset:392
	s_waitcnt vmcnt(0)
	v_mul_f32_e32 v51, v50, v48
	v_mul_f32_e32 v52, v49, v48
	v_fma_f32 v51, v49, v47, -v51
	v_fmac_f32_e32 v52, v50, v47
	ds_write2_b64 v43, v[53:54], v[51:52] offset1:49
	global_load_dwordx2 v[51:52], v43, s[10:11] offset:784
	ds_read2_b64 v[47:50], v43 offset0:98 offset1:147
	s_waitcnt vmcnt(0) lgkmcnt(0)
	v_mul_f32_e32 v53, v48, v52
	v_mul_f32_e32 v54, v47, v52
	v_fma_f32 v53, v47, v51, -v53
	v_fmac_f32_e32 v54, v48, v51
	global_load_dwordx2 v[47:48], v43, s[10:11] offset:1176
	s_waitcnt vmcnt(0)
	v_mul_f32_e32 v51, v50, v48
	v_mul_f32_e32 v52, v49, v48
	v_fma_f32 v51, v49, v47, -v51
	v_fmac_f32_e32 v52, v50, v47
	ds_write2_b64 v43, v[53:54], v[51:52] offset0:98 offset1:147
	global_load_dwordx2 v[51:52], v43, s[10:11] offset:1568
	ds_read2_b64 v[47:50], v43 offset0:196 offset1:245
	s_waitcnt vmcnt(0) lgkmcnt(0)
	v_mul_f32_e32 v53, v48, v52
	v_mul_f32_e32 v54, v47, v52
	v_fma_f32 v53, v47, v51, -v53
	v_fmac_f32_e32 v54, v48, v51
	global_load_dwordx2 v[47:48], v43, s[10:11] offset:1960
	s_waitcnt vmcnt(0)
	v_mul_f32_e32 v51, v50, v48
	v_mul_f32_e32 v52, v49, v48
	v_fma_f32 v51, v49, v47, -v51
	v_fmac_f32_e32 v52, v50, v47
	ds_write2_b64 v43, v[53:54], v[51:52] offset0:196 offset1:245
	global_load_dwordx2 v[51:52], v43, s[10:11] offset:2352
	ds_read2_b64 v[47:50], v55 offset0:38 offset1:87
	s_waitcnt vmcnt(0) lgkmcnt(0)
	v_mul_f32_e32 v53, v48, v52
	v_mul_f32_e32 v54, v47, v52
	v_fma_f32 v53, v47, v51, -v53
	v_fmac_f32_e32 v54, v48, v51
	global_load_dwordx2 v[47:48], v43, s[10:11] offset:2744
	s_waitcnt vmcnt(0)
	v_mul_f32_e32 v51, v50, v48
	v_mul_f32_e32 v52, v49, v48
	v_fma_f32 v51, v49, v47, -v51
	v_fmac_f32_e32 v52, v50, v47
	ds_read_b64 v[47:48], v43 offset:3136
	global_load_dwordx2 v[49:50], v43, s[10:11] offset:3136
	ds_write2_b64 v55, v[53:54], v[51:52] offset0:38 offset1:87
	s_waitcnt vmcnt(0) lgkmcnt(1)
	v_mul_f32_e32 v51, v48, v50
	v_mul_f32_e32 v52, v47, v50
	v_fma_f32 v51, v47, v49, -v51
	v_fmac_f32_e32 v52, v48, v49
	ds_write_b64 v43, v[51:52] offset:3136
.LBB0_9:
	s_or_b64 exec, exec, s[4:5]
	s_waitcnt lgkmcnt(0)
	; wave barrier
	s_waitcnt lgkmcnt(0)
	s_and_saveexec_b64 s[4:5], vcc
	s_cbranch_execz .LBB0_11
; %bb.10:
	ds_read2_b64 v[28:31], v43 offset1:49
	ds_read2_b64 v[36:39], v43 offset0:98 offset1:147
	ds_read2_b64 v[32:35], v43 offset0:196 offset1:245
	v_add_u32_e32 v12, 0x800, v43
	ds_read2_b64 v[12:15], v12 offset0:38 offset1:87
	ds_read_b64 v[41:42], v43 offset:3136
.LBB0_11:
	s_or_b64 exec, exec, s[4:5]
	s_waitcnt lgkmcnt(0)
	; wave barrier
	s_waitcnt lgkmcnt(0)
	s_and_saveexec_b64 s[4:5], vcc
	s_cbranch_execz .LBB0_13
; %bb.12:
	v_sub_f32_e32 v54, v32, v34
	v_add_f32_e32 v55, v15, v37
	v_mov_b32_e32 v48, v29
	v_sub_f32_e32 v53, v36, v14
	v_mul_f32_e32 v47, 0x3f7c1c5c, v54
	s_mov_b32 s10, 0xbf248dbb
	v_fmac_f32_e32 v48, 0x3f441b7d, v55
	v_add_f32_e32 v56, v35, v33
	v_sub_f32_e32 v60, v33, v35
	v_add_f32_e32 v36, v14, v36
	v_mov_b32_e32 v14, v28
	v_sub_f32_e32 v52, v38, v12
	v_fma_f32 v47, v53, s10, -v47
	v_fmac_f32_e32 v48, 0x3e31d0d4, v56
	v_add_f32_e32 v57, v13, v39
	v_sub_f32_e32 v39, v39, v13
	v_sub_f32_e32 v59, v37, v15
	v_mul_f32_e32 v13, 0x3f7c1c5c, v60
	v_fmac_f32_e32 v14, 0x3f441b7d, v36
	v_add_f32_e32 v61, v34, v32
	v_sub_f32_e32 v51, v30, v41
	v_fmac_f32_e32 v47, 0x3f5db3d7, v52
	v_fmac_f32_e32 v48, -0.5, v57
	v_add_f32_e32 v58, v42, v31
	v_fma_f32 v13, v59, s10, -v13
	v_fmac_f32_e32 v14, 0x3e31d0d4, v61
	v_add_f32_e32 v38, v12, v38
	v_fmac_f32_e32 v47, 0x3eaf1d44, v51
	v_fmac_f32_e32 v48, 0xbf708fb2, v58
	v_sub_f32_e32 v42, v31, v42
	v_fmac_f32_e32 v13, 0x3f5db3d7, v39
	v_fmac_f32_e32 v14, -0.5, v38
	v_add_f32_e32 v41, v41, v30
	v_add_f32_e32 v48, v47, v48
	v_fmac_f32_e32 v13, 0x3eaf1d44, v42
	v_fmac_f32_e32 v14, 0xbf708fb2, v41
	v_fma_f32 v50, -2.0, v47, v48
	v_sub_f32_e32 v47, v14, v13
	v_add_f32_e32 v14, v55, v58
	v_add_f32_e32 v12, v57, v14
	;; [unrolled: 1-line block ×6, first 2 shown]
	v_sub_f32_e32 v31, v15, v53
	v_add_f32_e32 v15, v57, v29
	v_add_f32_e32 v14, v56, v14
	v_fma_f32 v49, 2.0, v13, v47
	v_add_f32_e32 v13, v29, v12
	v_add_f32_e32 v12, v38, v30
	v_fmac_f32_e32 v15, -0.5, v14
	v_add_f32_e32 v12, v32, v12
	v_mul_f32_e32 v32, 0x3f5db3d7, v31
	v_fmac_f32_e32 v15, 0x3f5db3d7, v31
	v_add_f32_e32 v14, v60, v42
	v_fma_f32 v31, -2.0, v32, v15
	v_sub_f32_e32 v32, v14, v59
	v_add_f32_e32 v14, v38, v28
	v_add_f32_e32 v30, v61, v30
	v_fmac_f32_e32 v14, -0.5, v30
	v_mul_f32_e32 v33, 0x3f5db3d7, v32
	v_fmac_f32_e32 v14, 0xbf5db3d7, v32
	v_fma_f32 v30, 2.0, v33, v14
	v_mov_b32_e32 v33, v29
	v_mul_f32_e32 v32, 0xbf248dbb, v54
	v_fmac_f32_e32 v33, 0x3f441b7d, v56
	v_fmac_f32_e32 v32, 0x3f7c1c5c, v51
	;; [unrolled: 1-line block ×4, first 2 shown]
	v_fmac_f32_e32 v33, -0.5, v57
	v_fmac_f32_e32 v32, 0x3eaf1d44, v53
	v_fmac_f32_e32 v33, 0xbf708fb2, v55
	v_add_f32_e32 v12, v34, v12
	v_add_f32_e32 v33, v32, v33
	v_mul_f32_e32 v34, 0xbf248dbb, v60
	v_add_f32_e32 v12, v28, v12
	v_fma_f32 v35, -2.0, v32, v33
	v_fmac_f32_e32 v34, 0x3f7c1c5c, v42
	v_mov_b32_e32 v32, v28
	v_mul_f32_e32 v42, 0x3f248dbb, v42
	v_fmac_f32_e32 v28, 0x3f441b7d, v41
	v_fmac_f32_e32 v32, 0x3f441b7d, v61
	v_mul_f32_e32 v37, 0x3f248dbb, v51
	v_fmac_f32_e32 v29, 0x3f441b7d, v58
	v_fmac_f32_e32 v42, 0x3f7c1c5c, v59
	;; [unrolled: 1-line block ×7, first 2 shown]
	v_fmac_f32_e32 v28, -0.5, v38
	v_fmac_f32_e32 v34, 0xbf5db3d7, v39
	v_fmac_f32_e32 v32, -0.5, v38
	v_fmac_f32_e32 v37, 0x3f5db3d7, v52
	;; [unrolled: 2-line block ×3, first 2 shown]
	v_fmac_f32_e32 v28, 0xbf708fb2, v61
	v_fmac_f32_e32 v34, 0x3eaf1d44, v59
	;; [unrolled: 1-line block ×5, first 2 shown]
	v_sub_f32_e32 v28, v28, v42
	v_sub_f32_e32 v32, v32, v34
	v_add_f32_e32 v29, v37, v29
	v_lshlrev_b32_e32 v38, 3, v45
	v_mov_b32_e32 v36, v28
	v_fma_f32 v34, 2.0, v34, v32
	v_fma_f32 v37, -2.0, v37, v29
	v_fmac_f32_e32 v36, 2.0, v42
	ds_write2_b64 v38, v[12:13], v[28:29] offset1:1
	ds_write2_b64 v38, v[32:33], v[14:15] offset0:2 offset1:3
	ds_write2_b64 v38, v[47:48], v[49:50] offset0:4 offset1:5
	;; [unrolled: 1-line block ×3, first 2 shown]
	ds_write_b64 v38, v[36:37] offset:64
.LBB0_13:
	s_or_b64 exec, exec, s[4:5]
	s_waitcnt lgkmcnt(0)
	; wave barrier
	s_waitcnt lgkmcnt(0)
	ds_read2_b64 v[28:31], v43 offset1:63
	ds_read2_b64 v[32:35], v43 offset0:126 offset1:189
	v_add_u32_e32 v12, 0x400, v43
	ds_read2_b64 v[36:39], v12 offset0:124 offset1:187
	ds_read_b64 v[13:14], v43 offset:3024
	s_mov_b32 s4, 0xbf5ff5aa
	s_waitcnt lgkmcnt(3)
	v_mul_f32_e32 v15, v9, v31
	v_mul_f32_e32 v9, v9, v30
	v_fmac_f32_e32 v15, v8, v30
	v_fma_f32 v8, v8, v31, -v9
	s_waitcnt lgkmcnt(2)
	v_mul_f32_e32 v9, v11, v33
	v_mul_f32_e32 v11, v11, v32
	v_fmac_f32_e32 v9, v10, v32
	v_fma_f32 v10, v10, v33, -v11
	v_mul_f32_e32 v11, v5, v35
	v_mul_f32_e32 v5, v5, v34
	v_fmac_f32_e32 v11, v4, v34
	v_fma_f32 v4, v4, v35, -v5
	s_waitcnt lgkmcnt(1)
	v_mul_f32_e32 v5, v7, v37
	v_mul_f32_e32 v7, v7, v36
	v_fmac_f32_e32 v5, v6, v36
	v_fma_f32 v6, v6, v37, -v7
	;; [unrolled: 9-line block ×3, first 2 shown]
	v_add_f32_e32 v3, v15, v1
	v_add_f32_e32 v13, v8, v2
	v_sub_f32_e32 v2, v8, v2
	v_add_f32_e32 v8, v9, v7
	v_add_f32_e32 v14, v10, v0
	v_sub_f32_e32 v7, v9, v7
	v_sub_f32_e32 v0, v10, v0
	v_add_f32_e32 v9, v11, v5
	v_add_f32_e32 v10, v4, v6
	v_sub_f32_e32 v4, v6, v4
	v_add_f32_e32 v6, v8, v3
	v_sub_f32_e32 v5, v5, v11
	v_add_f32_e32 v11, v14, v13
	v_add_f32_e32 v6, v9, v6
	v_sub_f32_e32 v1, v15, v1
	v_sub_f32_e32 v15, v8, v3
	;; [unrolled: 1-line block ×4, first 2 shown]
	v_add_f32_e32 v31, v5, v7
	v_add_f32_e32 v32, v4, v0
	v_sub_f32_e32 v34, v4, v0
	v_sub_f32_e32 v35, v0, v2
	v_add_f32_e32 v9, v10, v11
	v_add_f32_e32 v0, v28, v6
	v_sub_f32_e32 v30, v14, v13
	v_sub_f32_e32 v13, v13, v10
	;; [unrolled: 1-line block ×6, first 2 shown]
	v_add_f32_e32 v10, v31, v1
	v_add_f32_e32 v1, v29, v9
	v_mul_f32_e32 v31, 0x3f08b237, v34
	v_mov_b32_e32 v34, v0
	v_sub_f32_e32 v4, v2, v4
	v_add_f32_e32 v2, v32, v2
	v_mul_f32_e32 v3, 0x3f4a47b2, v3
	v_mul_f32_e32 v11, 0x3f4a47b2, v13
	;; [unrolled: 1-line block ×7, first 2 shown]
	v_fmac_f32_e32 v34, 0xbf955555, v6
	v_mov_b32_e32 v6, v1
	s_mov_b32 s5, 0x3f3bfb3b
	s_mov_b32 s10, 0xbf3bfb3b
	;; [unrolled: 1-line block ×3, first 2 shown]
	v_fmac_f32_e32 v6, 0xbf955555, v9
	v_fma_f32 v9, v15, s5, -v13
	v_fma_f32 v13, v30, s5, -v28
	;; [unrolled: 1-line block ×3, first 2 shown]
	v_fmac_f32_e32 v3, 0x3d64c772, v8
	v_fma_f32 v8, v30, s10, -v11
	v_fmac_f32_e32 v11, 0x3d64c772, v14
	v_fma_f32 v14, v7, s4, -v29
	;; [unrolled: 2-line block ×4, first 2 shown]
	v_fma_f32 v32, v4, s11, -v33
	v_add_f32_e32 v33, v3, v34
	v_add_f32_e32 v35, v11, v6
	;; [unrolled: 1-line block ×6, first 2 shown]
	v_fmac_f32_e32 v29, 0xbee1c552, v10
	v_fmac_f32_e32 v31, 0xbee1c552, v2
	;; [unrolled: 1-line block ×6, first 2 shown]
	v_add_f32_e32 v2, v31, v33
	v_sub_f32_e32 v3, v35, v29
	v_add_f32_e32 v4, v32, v13
	v_sub_f32_e32 v5, v15, v30
	v_sub_f32_e32 v6, v9, v28
	v_add_f32_e32 v7, v14, v11
	v_add_f32_e32 v8, v28, v9
	v_sub_f32_e32 v9, v11, v14
	v_sub_f32_e32 v10, v13, v32
	v_add_f32_e32 v11, v30, v15
	v_sub_f32_e32 v13, v33, v31
	v_add_f32_e32 v14, v29, v35
	s_waitcnt lgkmcnt(0)
	; wave barrier
	ds_write2_b64 v46, v[0:1], v[2:3] offset1:9
	ds_write2_b64 v46, v[4:5], v[6:7] offset0:18 offset1:27
	ds_write2_b64 v46, v[8:9], v[10:11] offset0:36 offset1:45
	ds_write_b64 v46, v[13:14] offset:432
	s_waitcnt lgkmcnt(0)
	; wave barrier
	s_waitcnt lgkmcnt(0)
	ds_read2_b64 v[0:3], v43 offset1:63
	ds_read2_b64 v[4:7], v43 offset0:126 offset1:189
	ds_read2_b64 v[8:11], v12 offset0:124 offset1:187
	ds_read_b64 v[13:14], v43 offset:3024
	s_waitcnt lgkmcnt(3)
	v_mul_f32_e32 v15, v25, v3
	v_fmac_f32_e32 v15, v24, v2
	v_mul_f32_e32 v2, v25, v2
	v_fma_f32 v2, v24, v3, -v2
	s_waitcnt lgkmcnt(2)
	v_mul_f32_e32 v3, v27, v5
	v_fmac_f32_e32 v3, v26, v4
	v_mul_f32_e32 v4, v27, v4
	v_fma_f32 v4, v26, v5, -v4
	v_mul_f32_e32 v5, v21, v7
	v_fmac_f32_e32 v5, v20, v6
	v_mul_f32_e32 v6, v21, v6
	v_fma_f32 v6, v20, v7, -v6
	s_waitcnt lgkmcnt(1)
	v_mul_f32_e32 v7, v23, v9
	v_fmac_f32_e32 v7, v22, v8
	v_mul_f32_e32 v8, v23, v8
	v_fma_f32 v8, v22, v9, -v8
	;; [unrolled: 9-line block ×3, first 2 shown]
	v_add_f32_e32 v14, v15, v11
	v_add_f32_e32 v16, v2, v13
	v_sub_f32_e32 v2, v2, v13
	v_add_f32_e32 v13, v3, v9
	v_sub_f32_e32 v11, v15, v11
	;; [unrolled: 2-line block ×6, first 2 shown]
	v_add_f32_e32 v8, v15, v16
	v_add_f32_e32 v7, v9, v7
	;; [unrolled: 1-line block ×4, first 2 shown]
	v_sub_f32_e32 v17, v13, v14
	v_sub_f32_e32 v18, v15, v16
	;; [unrolled: 1-line block ×6, first 2 shown]
	v_add_f32_e32 v19, v5, v3
	v_add_f32_e32 v20, v6, v4
	v_sub_f32_e32 v21, v5, v3
	v_sub_f32_e32 v22, v6, v4
	v_add_f32_e32 v1, v1, v8
	v_mov_b32_e32 v23, v0
	v_sub_f32_e32 v5, v11, v5
	v_sub_f32_e32 v6, v2, v6
	;; [unrolled: 1-line block ×4, first 2 shown]
	v_add_f32_e32 v9, v19, v11
	v_add_f32_e32 v2, v20, v2
	v_mul_f32_e32 v10, 0x3f4a47b2, v14
	v_mul_f32_e32 v11, 0x3f4a47b2, v16
	;; [unrolled: 1-line block ×6, first 2 shown]
	v_fmac_f32_e32 v23, 0xbf955555, v7
	v_mov_b32_e32 v7, v1
	v_mul_f32_e32 v21, 0xbf5ff5aa, v3
	v_mul_f32_e32 v22, 0xbf5ff5aa, v4
	v_fmac_f32_e32 v7, 0xbf955555, v8
	v_fma_f32 v8, v17, s5, -v14
	v_fma_f32 v14, v18, s5, -v16
	;; [unrolled: 1-line block ×3, first 2 shown]
	v_fmac_f32_e32 v10, 0x3d64c772, v13
	v_fma_f32 v13, v18, s10, -v11
	v_fmac_f32_e32 v11, 0x3d64c772, v15
	v_fma_f32 v15, v3, s4, -v19
	;; [unrolled: 2-line block ×4, first 2 shown]
	v_fma_f32 v21, v6, s11, -v22
	v_add_f32_e32 v22, v10, v23
	v_add_f32_e32 v24, v11, v7
	v_fmac_f32_e32 v19, 0xbee1c552, v9
	v_fmac_f32_e32 v20, 0xbee1c552, v2
	v_add_f32_e32 v8, v8, v23
	v_add_f32_e32 v10, v14, v7
	;; [unrolled: 1-line block ×4, first 2 shown]
	v_fmac_f32_e32 v15, 0xbee1c552, v9
	v_fmac_f32_e32 v17, 0xbee1c552, v2
	;; [unrolled: 1-line block ×4, first 2 shown]
	v_add_f32_e32 v2, v20, v22
	v_sub_f32_e32 v3, v24, v19
	v_add_f32_e32 v4, v21, v11
	v_sub_f32_e32 v5, v13, v18
	v_sub_f32_e32 v6, v8, v17
	v_add_f32_e32 v7, v15, v10
	v_add_f32_e32 v8, v17, v8
	v_sub_f32_e32 v9, v10, v15
	v_sub_f32_e32 v10, v11, v21
	v_add_f32_e32 v11, v18, v13
	v_sub_f32_e32 v13, v22, v20
	v_add_f32_e32 v14, v19, v24
	ds_write2_b64 v43, v[0:1], v[2:3] offset1:63
	ds_write2_b64 v43, v[4:5], v[6:7] offset0:126 offset1:189
	ds_write2_b64 v12, v[8:9], v[10:11] offset0:124 offset1:187
	ds_write_b64 v43, v[13:14] offset:3024
	s_waitcnt lgkmcnt(0)
	; wave barrier
	s_waitcnt lgkmcnt(0)
	s_and_b64 exec, exec, vcc
	s_cbranch_execz .LBB0_15
; %bb.14:
	global_load_dwordx2 v[8:9], v43, s[8:9]
	global_load_dwordx2 v[10:11], v43, s[8:9] offset:392
	global_load_dwordx2 v[13:14], v43, s[8:9] offset:784
	;; [unrolled: 1-line block ×4, first 2 shown]
	ds_read_b64 v[19:20], v43
	ds_read2_b64 v[0:3], v43 offset0:49 offset1:98
	ds_read2_b64 v[4:7], v43 offset0:147 offset1:196
	global_load_dwordx2 v[25:26], v43, s[8:9] offset:1960
	global_load_dwordx2 v[27:28], v43, s[8:9] offset:2352
	;; [unrolled: 1-line block ×4, first 2 shown]
	v_mad_u64_u32 v[21:22], s[4:5], s2, v40, 0
	v_mad_u64_u32 v[23:24], s[10:11], s0, v44, 0
	v_mov_b32_e32 v36, s7
	s_mul_i32 s2, s1, 0x188
	s_mul_hi_u32 s7, s0, 0x188
	s_add_i32 s7, s7, s2
	v_mad_u64_u32 v[33:34], s[2:3], s3, v40, v[22:23]
	s_mulk_i32 s0, 0x188
	v_mov_b32_e32 v37, s7
	v_mov_b32_e32 v22, v33
	v_lshlrev_b64 v[21:22], 3, v[21:22]
	s_mov_b32 s4, 0x5bb804a5
	v_add_co_u32_e32 v21, vcc, s6, v21
	v_addc_co_u32_e32 v22, vcc, v36, v22, vcc
	s_mov_b32 s5, 0x3f629372
	s_waitcnt vmcnt(7) lgkmcnt(1)
	v_mul_f32_e32 v36, v1, v11
	v_mul_f32_e32 v11, v0, v11
	s_waitcnt vmcnt(5) lgkmcnt(0)
	v_mul_f32_e32 v38, v5, v16
	v_mul_f32_e32 v16, v4, v16
	s_waitcnt vmcnt(3)
	v_mad_u64_u32 v[34:35], s[2:3], s1, v44, v[24:25]
	v_mov_b32_e32 v35, s7
	v_mul_f32_e32 v39, v7, v18
	v_mov_b32_e32 v24, v34
	v_lshlrev_b64 v[23:24], 3, v[23:24]
	v_mul_f32_e32 v18, v6, v18
	v_add_co_u32_e32 v21, vcc, v21, v23
	v_addc_co_u32_e32 v22, vcc, v22, v24, vcc
	v_add_co_u32_e32 v23, vcc, s0, v21
	v_addc_co_u32_e32 v24, vcc, v22, v35, vcc
	v_add_co_u32_e32 v33, vcc, s0, v23
	v_mul_f32_e32 v35, v20, v9
	v_mul_f32_e32 v9, v19, v9
	v_addc_co_u32_e32 v34, vcc, v24, v37, vcc
	v_mul_f32_e32 v37, v3, v14
	v_mul_f32_e32 v14, v2, v14
	v_fmac_f32_e32 v35, v19, v8
	v_fma_f32 v8, v8, v20, -v9
	v_fmac_f32_e32 v36, v0, v10
	v_fma_f32 v9, v10, v1, -v11
	;; [unrolled: 2-line block ×3, first 2 shown]
	v_cvt_f64_f32_e32 v[0:1], v35
	v_cvt_f64_f32_e32 v[2:3], v8
	v_fmac_f32_e32 v38, v4, v15
	v_fma_f32 v15, v15, v5, -v16
	v_fmac_f32_e32 v39, v6, v17
	v_fma_f32 v19, v17, v7, -v18
	v_cvt_f64_f32_e32 v[4:5], v36
	v_cvt_f64_f32_e32 v[6:7], v9
	;; [unrolled: 1-line block ×4, first 2 shown]
	v_mul_f64 v[0:1], v[0:1], s[4:5]
	v_mul_f64 v[2:3], v[2:3], s[4:5]
	;; [unrolled: 1-line block ×4, first 2 shown]
	v_cvt_f64_f32_e32 v[13:14], v38
	v_cvt_f64_f32_e32 v[15:16], v15
	v_mul_f64 v[8:9], v[8:9], s[4:5]
	v_mul_f64 v[10:11], v[10:11], s[4:5]
	;; [unrolled: 1-line block ×4, first 2 shown]
	v_cvt_f32_f64_e32 v0, v[0:1]
	v_cvt_f32_f64_e32 v1, v[2:3]
	v_cvt_f32_f64_e32 v2, v[4:5]
	v_cvt_f32_f64_e32 v3, v[6:7]
	v_cvt_f32_f64_e32 v4, v[8:9]
	v_cvt_f32_f64_e32 v5, v[10:11]
	global_store_dwordx2 v[21:22], v[0:1], off
	global_store_dwordx2 v[23:24], v[2:3], off
	;; [unrolled: 1-line block ×3, first 2 shown]
	ds_read2_b64 v[0:3], v12 offset0:117 offset1:166
	v_cvt_f64_f32_e32 v[17:18], v39
	v_cvt_f64_f32_e32 v[19:20], v19
	v_cvt_f32_f64_e32 v6, v[13:14]
	v_cvt_f32_f64_e32 v7, v[15:16]
	v_mov_b32_e32 v11, s7
	v_add_co_u32_e32 v10, vcc, s0, v33
	v_addc_co_u32_e32 v11, vcc, v34, v11, vcc
	v_mul_f64 v[4:5], v[17:18], s[4:5]
	v_mul_f64 v[8:9], v[19:20], s[4:5]
	global_store_dwordx2 v[10:11], v[6:7], off
	s_waitcnt lgkmcnt(0)
	v_mul_f32_e32 v6, v1, v26
	v_fmac_f32_e32 v6, v0, v25
	v_cvt_f64_f32_e32 v[6:7], v6
	v_mul_f32_e32 v0, v0, v26
	v_fma_f32 v0, v25, v1, -v0
	v_cvt_f64_f32_e32 v[0:1], v0
	v_mul_f64 v[6:7], v[6:7], s[4:5]
	v_cvt_f32_f64_e32 v4, v[4:5]
	v_cvt_f32_f64_e32 v5, v[8:9]
	v_mov_b32_e32 v9, s7
	v_add_co_u32_e32 v8, vcc, s0, v10
	v_addc_co_u32_e32 v9, vcc, v11, v9, vcc
	v_mul_f64 v[0:1], v[0:1], s[4:5]
	global_store_dwordx2 v[8:9], v[4:5], off
	s_waitcnt vmcnt(7)
	v_mul_f32_e32 v5, v3, v28
	v_fmac_f32_e32 v5, v2, v27
	v_cvt_f32_f64_e32 v4, v[6:7]
	v_cvt_f64_f32_e32 v[6:7], v5
	v_mul_f32_e32 v2, v2, v28
	v_fma_f32 v2, v27, v3, -v2
	v_cvt_f64_f32_e32 v[2:3], v2
	v_mul_f64 v[6:7], v[6:7], s[4:5]
	v_cvt_f32_f64_e32 v5, v[0:1]
	v_mov_b32_e32 v0, s7
	v_add_co_u32_e32 v8, vcc, s0, v8
	v_addc_co_u32_e32 v9, vcc, v9, v0, vcc
	v_add_u32_e32 v0, 0x800, v43
	v_mul_f64 v[10:11], v[2:3], s[4:5]
	ds_read2_b64 v[0:3], v0 offset0:87 offset1:136
	global_store_dwordx2 v[8:9], v[4:5], off
	v_cvt_f32_f64_e32 v4, v[6:7]
	v_add_co_u32_e32 v8, vcc, s0, v8
	s_waitcnt vmcnt(7) lgkmcnt(0)
	v_mul_f32_e32 v6, v1, v30
	v_fmac_f32_e32 v6, v0, v29
	v_mul_f32_e32 v0, v0, v30
	v_fma_f32 v0, v29, v1, -v0
	v_cvt_f32_f64_e32 v5, v[10:11]
	v_cvt_f64_f32_e32 v[6:7], v6
	v_cvt_f64_f32_e32 v[0:1], v0
	v_mov_b32_e32 v10, s7
	v_addc_co_u32_e32 v9, vcc, v9, v10, vcc
	global_store_dwordx2 v[8:9], v[4:5], off
	v_mul_f64 v[4:5], v[6:7], s[4:5]
	v_mul_f64 v[0:1], v[0:1], s[4:5]
	s_waitcnt vmcnt(7)
	v_mul_f32_e32 v6, v3, v32
	v_fmac_f32_e32 v6, v2, v31
	v_mul_f32_e32 v2, v2, v32
	v_fma_f32 v2, v31, v3, -v2
	v_cvt_f64_f32_e32 v[6:7], v6
	v_cvt_f64_f32_e32 v[2:3], v2
	v_cvt_f32_f64_e32 v4, v[4:5]
	v_cvt_f32_f64_e32 v5, v[0:1]
	v_mul_f64 v[0:1], v[6:7], s[4:5]
	v_mul_f64 v[2:3], v[2:3], s[4:5]
	v_mov_b32_e32 v7, s7
	v_add_co_u32_e32 v6, vcc, s0, v8
	v_addc_co_u32_e32 v7, vcc, v9, v7, vcc
	global_store_dwordx2 v[6:7], v[4:5], off
	v_cvt_f32_f64_e32 v0, v[0:1]
	v_cvt_f32_f64_e32 v1, v[2:3]
	v_mov_b32_e32 v3, s7
	v_add_co_u32_e32 v2, vcc, s0, v6
	v_addc_co_u32_e32 v3, vcc, v7, v3, vcc
	global_store_dwordx2 v[2:3], v[0:1], off
.LBB0_15:
	s_endpgm
	.section	.rodata,"a",@progbits
	.p2align	6, 0x0
	.amdhsa_kernel bluestein_single_fwd_len441_dim1_sp_op_CI_CI
		.amdhsa_group_segment_fixed_size 3528
		.amdhsa_private_segment_fixed_size 0
		.amdhsa_kernarg_size 104
		.amdhsa_user_sgpr_count 6
		.amdhsa_user_sgpr_private_segment_buffer 1
		.amdhsa_user_sgpr_dispatch_ptr 0
		.amdhsa_user_sgpr_queue_ptr 0
		.amdhsa_user_sgpr_kernarg_segment_ptr 1
		.amdhsa_user_sgpr_dispatch_id 0
		.amdhsa_user_sgpr_flat_scratch_init 0
		.amdhsa_user_sgpr_private_segment_size 0
		.amdhsa_uses_dynamic_stack 0
		.amdhsa_system_sgpr_private_segment_wavefront_offset 0
		.amdhsa_system_sgpr_workgroup_id_x 1
		.amdhsa_system_sgpr_workgroup_id_y 0
		.amdhsa_system_sgpr_workgroup_id_z 0
		.amdhsa_system_sgpr_workgroup_info 0
		.amdhsa_system_vgpr_workitem_id 0
		.amdhsa_next_free_vgpr 62
		.amdhsa_next_free_sgpr 16
		.amdhsa_reserve_vcc 1
		.amdhsa_reserve_flat_scratch 0
		.amdhsa_float_round_mode_32 0
		.amdhsa_float_round_mode_16_64 0
		.amdhsa_float_denorm_mode_32 3
		.amdhsa_float_denorm_mode_16_64 3
		.amdhsa_dx10_clamp 1
		.amdhsa_ieee_mode 1
		.amdhsa_fp16_overflow 0
		.amdhsa_exception_fp_ieee_invalid_op 0
		.amdhsa_exception_fp_denorm_src 0
		.amdhsa_exception_fp_ieee_div_zero 0
		.amdhsa_exception_fp_ieee_overflow 0
		.amdhsa_exception_fp_ieee_underflow 0
		.amdhsa_exception_fp_ieee_inexact 0
		.amdhsa_exception_int_div_zero 0
	.end_amdhsa_kernel
	.text
.Lfunc_end0:
	.size	bluestein_single_fwd_len441_dim1_sp_op_CI_CI, .Lfunc_end0-bluestein_single_fwd_len441_dim1_sp_op_CI_CI
                                        ; -- End function
	.section	.AMDGPU.csdata,"",@progbits
; Kernel info:
; codeLenInByte = 6580
; NumSgprs: 20
; NumVgprs: 62
; ScratchSize: 0
; MemoryBound: 0
; FloatMode: 240
; IeeeMode: 1
; LDSByteSize: 3528 bytes/workgroup (compile time only)
; SGPRBlocks: 2
; VGPRBlocks: 15
; NumSGPRsForWavesPerEU: 20
; NumVGPRsForWavesPerEU: 62
; Occupancy: 4
; WaveLimiterHint : 1
; COMPUTE_PGM_RSRC2:SCRATCH_EN: 0
; COMPUTE_PGM_RSRC2:USER_SGPR: 6
; COMPUTE_PGM_RSRC2:TRAP_HANDLER: 0
; COMPUTE_PGM_RSRC2:TGID_X_EN: 1
; COMPUTE_PGM_RSRC2:TGID_Y_EN: 0
; COMPUTE_PGM_RSRC2:TGID_Z_EN: 0
; COMPUTE_PGM_RSRC2:TIDIG_COMP_CNT: 0
	.type	__hip_cuid_4f383a1f542b0a07,@object ; @__hip_cuid_4f383a1f542b0a07
	.section	.bss,"aw",@nobits
	.globl	__hip_cuid_4f383a1f542b0a07
__hip_cuid_4f383a1f542b0a07:
	.byte	0                               ; 0x0
	.size	__hip_cuid_4f383a1f542b0a07, 1

	.ident	"AMD clang version 19.0.0git (https://github.com/RadeonOpenCompute/llvm-project roc-6.4.0 25133 c7fe45cf4b819c5991fe208aaa96edf142730f1d)"
	.section	".note.GNU-stack","",@progbits
	.addrsig
	.addrsig_sym __hip_cuid_4f383a1f542b0a07
	.amdgpu_metadata
---
amdhsa.kernels:
  - .args:
      - .actual_access:  read_only
        .address_space:  global
        .offset:         0
        .size:           8
        .value_kind:     global_buffer
      - .actual_access:  read_only
        .address_space:  global
        .offset:         8
        .size:           8
        .value_kind:     global_buffer
      - .actual_access:  read_only
        .address_space:  global
        .offset:         16
        .size:           8
        .value_kind:     global_buffer
      - .actual_access:  read_only
        .address_space:  global
        .offset:         24
        .size:           8
        .value_kind:     global_buffer
      - .actual_access:  read_only
        .address_space:  global
        .offset:         32
        .size:           8
        .value_kind:     global_buffer
      - .offset:         40
        .size:           8
        .value_kind:     by_value
      - .address_space:  global
        .offset:         48
        .size:           8
        .value_kind:     global_buffer
      - .address_space:  global
        .offset:         56
        .size:           8
        .value_kind:     global_buffer
      - .address_space:  global
        .offset:         64
        .size:           8
        .value_kind:     global_buffer
      - .address_space:  global
        .offset:         72
        .size:           8
        .value_kind:     global_buffer
      - .offset:         80
        .size:           4
        .value_kind:     by_value
      - .address_space:  global
        .offset:         88
        .size:           8
        .value_kind:     global_buffer
      - .address_space:  global
        .offset:         96
        .size:           8
        .value_kind:     global_buffer
    .group_segment_fixed_size: 3528
    .kernarg_segment_align: 8
    .kernarg_segment_size: 104
    .language:       OpenCL C
    .language_version:
      - 2
      - 0
    .max_flat_workgroup_size: 63
    .name:           bluestein_single_fwd_len441_dim1_sp_op_CI_CI
    .private_segment_fixed_size: 0
    .sgpr_count:     20
    .sgpr_spill_count: 0
    .symbol:         bluestein_single_fwd_len441_dim1_sp_op_CI_CI.kd
    .uniform_work_group_size: 1
    .uses_dynamic_stack: false
    .vgpr_count:     62
    .vgpr_spill_count: 0
    .wavefront_size: 64
amdhsa.target:   amdgcn-amd-amdhsa--gfx906
amdhsa.version:
  - 1
  - 2
...

	.end_amdgpu_metadata
